;; amdgpu-corpus repo=ROCm/rocFFT kind=compiled arch=gfx906 opt=O3
	.text
	.amdgcn_target "amdgcn-amd-amdhsa--gfx906"
	.amdhsa_code_object_version 6
	.protected	fft_rtc_back_len243_factors_3_3_3_3_3_wgs_216_tpt_27_dp_op_CI_CI_sbrc_z_xy_unaligned ; -- Begin function fft_rtc_back_len243_factors_3_3_3_3_3_wgs_216_tpt_27_dp_op_CI_CI_sbrc_z_xy_unaligned
	.globl	fft_rtc_back_len243_factors_3_3_3_3_3_wgs_216_tpt_27_dp_op_CI_CI_sbrc_z_xy_unaligned
	.p2align	8
	.type	fft_rtc_back_len243_factors_3_3_3_3_3_wgs_216_tpt_27_dp_op_CI_CI_sbrc_z_xy_unaligned,@function
fft_rtc_back_len243_factors_3_3_3_3_3_wgs_216_tpt_27_dp_op_CI_CI_sbrc_z_xy_unaligned: ; @fft_rtc_back_len243_factors_3_3_3_3_3_wgs_216_tpt_27_dp_op_CI_CI_sbrc_z_xy_unaligned
; %bb.0:
	s_load_dwordx8 s[8:15], s[4:5], 0x0
	v_lshl_add_u32 v3, v0, 4, 0
	s_waitcnt lgkmcnt(0)
	s_load_dwordx4 s[0:3], s[12:13], 0x8
	s_load_dwordx2 s[24:25], s[4:5], 0x20
	s_load_dwordx4 s[16:19], s[14:15], 0x0
	s_load_dword s7, s[14:15], 0x10
	s_waitcnt lgkmcnt(0)
	s_add_i32 s1, s0, -1
	s_lshr_b32 s1, s1, 3
	s_add_i32 s3, s1, 1
	s_mul_i32 s2, s3, s2
	v_cvt_f32_u32_e32 v2, s2
	v_cvt_f32_u32_e32 v1, s3
	s_sub_i32 s12, 0, s2
	v_rcp_iflag_f32_e32 v2, v2
	v_rcp_iflag_f32_e32 v1, v1
	v_mul_f32_e32 v2, 0x4f7ffffe, v2
	v_cvt_u32_f32_e32 v2, v2
	v_mul_f32_e32 v1, 0x4f7ffffe, v1
	v_cvt_u32_f32_e32 v1, v1
	v_readfirstlane_b32 s19, v2
	s_mul_i32 s12, s12, s19
	s_mul_hi_u32 s12, s19, s12
	s_add_i32 s19, s19, s12
	s_mul_hi_u32 s12, s6, s19
	s_mul_i32 s19, s12, s2
	s_sub_i32 s19, s6, s19
	s_add_i32 s20, s12, 1
	s_sub_i32 s21, s19, s2
	s_cmp_ge_u32 s19, s2
	s_cselect_b32 s12, s20, s12
	s_cselect_b32 s19, s21, s19
	s_add_i32 s20, s12, 1
	s_cmp_ge_u32 s19, s2
	v_readfirstlane_b32 s13, v1
	s_cselect_b32 s26, s20, s12
	s_not_b32 s1, s1
	s_mul_i32 s1, s1, s13
	s_mul_i32 s2, s26, s2
	s_mul_hi_u32 s1, s13, s1
	s_sub_i32 s2, s6, s2
	s_add_i32 s13, s13, s1
	s_mul_hi_u32 s1, s2, s13
	s_mul_i32 s12, s1, s3
	s_sub_i32 s2, s2, s12
	s_add_i32 s19, s1, 1
	s_sub_i32 s12, s2, s3
	s_cmp_ge_u32 s2, s3
	s_cselect_b32 s1, s19, s1
	s_cselect_b32 s2, s12, s2
	s_add_i32 s12, s1, 1
	s_cmp_ge_u32 s2, s3
	s_cselect_b32 s28, s12, s1
	s_mul_hi_u32 s1, s6, s13
	s_mul_i32 s1, s1, s3
	s_sub_i32 s1, s6, s1
	s_sub_i32 s2, s1, s3
	s_cmp_ge_u32 s1, s3
	s_cselect_b32 s1, s2, s1
	s_sub_i32 s2, s1, s3
	s_cmp_ge_u32 s1, s3
	s_cselect_b32 s1, s2, s1
	s_lshl_b32 s27, s1, 3
	s_mul_i32 s2, s28, s7
	s_mul_i32 s1, s27, s18
	s_add_i32 s1, s1, s2
	s_lshl_b64 s[6:7], s[10:11], 3
	s_add_u32 s10, s14, s6
	s_addc_u32 s11, s15, s7
	s_load_dwordx2 s[22:23], s[10:11], 0x0
	s_load_dwordx2 s[20:21], s[4:5], 0x58
	s_load_dwordx4 s[12:15], s[24:25], 0x0
	s_load_dwordx2 s[2:3], s[24:25], 0x10
	s_waitcnt lgkmcnt(0)
	s_mul_i32 s3, s23, s26
	s_mul_hi_u32 s10, s22, s26
	s_add_i32 s10, s10, s3
	s_mul_i32 s3, s22, s26
	s_add_u32 s22, s3, s1
	s_addc_u32 s23, s10, 0
	s_add_u32 s6, s24, s6
	s_addc_u32 s7, s25, s7
	s_load_dwordx2 s[6:7], s[6:7], 0x0
	s_add_i32 s1, s27, 8
	s_cmp_le_u32 s1, s0
	s_cselect_b64 s[10:11], -1, 0
	s_mov_b64 s[24:25], -1
	s_and_b64 vcc, exec, s[10:11]
	s_cbranch_vccnz .LBB0_4
; %bb.1:
	s_lshl_b64 s[24:25], s[22:23], 4
	s_add_u32 s1, s20, s24
	s_addc_u32 s15, s21, s25
	s_mov_b64 s[24:25], 0
	s_movk_i32 s3, 0xdb3
	v_mov_b32_e32 v2, 0
	v_mov_b32_e32 v4, s15
	s_movk_i32 s15, 0x797
	v_mov_b32_e32 v5, v0
	v_mov_b32_e32 v6, v3
.LBB0_2:                                ; =>This Inner Loop Header: Depth=1
	v_mul_u32_u24_sdwa v1, v5, s3 dst_sel:DWORD dst_unused:UNUSED_PAD src0_sel:WORD_0 src1_sel:DWORD
	v_sub_u16_sdwa v7, v5, v1 dst_sel:DWORD dst_unused:UNUSED_PAD src0_sel:DWORD src1_sel:WORD_1
	v_lshrrev_b16_e32 v7, 1, v7
	v_add_u16_sdwa v1, v7, v1 dst_sel:DWORD dst_unused:UNUSED_PAD src0_sel:DWORD src1_sel:WORD_1
	v_lshrrev_b16_e32 v1, 7, v1
	v_mul_lo_u16_e32 v7, 0xf3, v1
	v_sub_u16_e32 v11, v5, v7
	v_mul_lo_u32 v1, s18, v1
	v_mad_u64_u32 v[7:8], s[30:31], s16, v11, 0
	v_add_u32_e32 v5, 0xd8, v5
	v_lshlrev_b64 v[9:10], 4, v[1:2]
	v_mov_b32_e32 v1, v8
	v_mad_u64_u32 v[11:12], s[30:31], s17, v11, v[1:2]
	v_mov_b32_e32 v8, v11
	v_lshlrev_b64 v[7:8], 4, v[7:8]
	v_add_co_u32_e32 v1, vcc, s1, v7
	v_addc_co_u32_e32 v8, vcc, v4, v8, vcc
	v_add_co_u32_e32 v7, vcc, v1, v9
	v_addc_co_u32_e32 v8, vcc, v8, v10, vcc
	global_load_dwordx4 v[7:10], v[7:8], off
	v_cmp_lt_u32_e32 vcc, s15, v5
	s_or_b64 s[24:25], vcc, s[24:25]
	s_waitcnt vmcnt(0)
	ds_write_b128 v6, v[7:10]
	v_add_u32_e32 v6, 0xd80, v6
	s_andn2_b64 exec, exec, s[24:25]
	s_cbranch_execnz .LBB0_2
; %bb.3:
	s_or_b64 exec, exec, s[24:25]
	s_mov_b64 s[24:25], 0
.LBB0_4:
	s_and_b64 vcc, exec, s[24:25]
	s_cbranch_vccz .LBB0_6
; %bb.5:
	s_movk_i32 s1, 0x10e
	v_mul_u32_u24_sdwa v1, v0, s1 dst_sel:DWORD dst_unused:UNUSED_PAD src0_sel:WORD_0 src1_sel:DWORD
	v_lshrrev_b32_e32 v6, 16, v1
	v_mul_lo_u16_e32 v1, 0xf3, v6
	v_sub_u16_e32 v4, v0, v1
	v_mad_u64_u32 v[1:2], s[24:25], s16, v4, 0
	s_lshl_b64 s[22:23], s[22:23], 4
	v_mul_lo_u32 v36, s18, v6
	v_mad_u64_u32 v[4:5], s[24:25], s17, v4, v[2:3]
	s_add_u32 s1, s20, s22
	s_addc_u32 s3, s21, s23
	v_mov_b32_e32 v2, v4
	v_lshlrev_b64 v[1:2], 4, v[1:2]
	v_mov_b32_e32 v37, 0
	v_mov_b32_e32 v4, s3
	v_add_co_u32_e32 v5, vcc, s1, v1
	v_addc_co_u32_e32 v4, vcc, v4, v2, vcc
	v_lshlrev_b64 v[1:2], 4, v[36:37]
	v_add_u32_e32 v6, 0x1b0, v0
	v_add_co_u32_e32 v1, vcc, v5, v1
	v_addc_co_u32_e32 v2, vcc, v4, v2, vcc
	v_add_u32_e32 v4, 0xd8, v0
	v_mul_u32_u24_e32 v5, 0x10e, v4
	v_lshrrev_b32_e32 v10, 16, v5
	v_mul_u32_u24_e32 v8, 0x437, v6
	v_mul_lo_u16_e32 v5, 0xf3, v10
	v_lshrrev_b32_e32 v18, 18, v8
	v_sub_u16_e32 v8, v4, v5
	v_mad_u64_u32 v[4:5], s[20:21], s16, v8, 0
	v_add_u32_e32 v7, 0x288, v0
	v_mul_u32_u24_e32 v9, 0x437, v7
	v_lshrrev_b32_e32 v19, 18, v9
	v_mul_lo_u16_e32 v9, 0xf3, v18
	v_sub_u16_e32 v20, v6, v9
	v_mad_u64_u32 v[5:6], s[20:21], s17, v8, v[5:6]
	v_mul_lo_u32 v36, s18, v10
	v_mov_b32_e32 v6, s3
	v_lshlrev_b64 v[4:5], 4, v[4:5]
	v_mad_u64_u32 v[14:15], s[20:21], s16, v20, 0
	v_add_co_u32_e32 v9, vcc, s1, v4
	v_addc_co_u32_e32 v6, vcc, v6, v5, vcc
	v_lshlrev_b64 v[4:5], 4, v[36:37]
	v_mul_lo_u16_e32 v8, 0xf3, v19
	v_add_co_u32_e32 v12, vcc, v9, v4
	v_addc_co_u32_e32 v13, vcc, v6, v5, vcc
	v_sub_u16_e32 v21, v7, v8
	global_load_dwordx4 v[4:7], v[1:2], off
	global_load_dwordx4 v[8:11], v[12:13], off
	v_mov_b32_e32 v1, v15
	v_mad_u64_u32 v[1:2], s[20:21], s17, v20, v[1:2]
	v_mad_u64_u32 v[12:13], s[20:21], s16, v21, 0
	v_add_u32_e32 v16, 0x360, v0
	v_mov_b32_e32 v15, v1
	v_mov_b32_e32 v1, v13
	v_mul_lo_u32 v36, s18, v18
	v_mul_u32_u24_e32 v17, 0x437, v16
	v_mad_u64_u32 v[1:2], s[20:21], s17, v21, v[1:2]
	v_lshlrev_b64 v[14:15], 4, v[14:15]
	v_lshrrev_b32_e32 v17, 18, v17
	v_mov_b32_e32 v20, s3
	v_mul_lo_u16_e32 v2, 0xf3, v17
	v_add_co_u32_e32 v18, vcc, s1, v14
	v_sub_u16_e32 v16, v16, v2
	v_addc_co_u32_e32 v21, vcc, v20, v15, vcc
	v_lshlrev_b64 v[14:15], 4, v[36:37]
	v_mov_b32_e32 v13, v1
	v_mad_u64_u32 v[1:2], s[20:21], s16, v16, 0
	v_mul_lo_u32 v36, s18, v19
	v_lshlrev_b64 v[12:13], 4, v[12:13]
	v_add_co_u32_e32 v20, vcc, v18, v14
	v_addc_co_u32_e32 v21, vcc, v21, v15, vcc
	v_mov_b32_e32 v22, s3
	v_add_co_u32_e32 v18, vcc, s1, v12
	v_addc_co_u32_e32 v19, vcc, v22, v13, vcc
	v_lshlrev_b64 v[12:13], 4, v[36:37]
	v_mad_u64_u32 v[14:15], s[20:21], s17, v16, v[2:3]
	v_add_co_u32_e32 v22, vcc, v18, v12
	v_addc_co_u32_e32 v23, vcc, v19, v13, vcc
	v_add_u32_e32 v13, 0x438, v0
	v_mov_b32_e32 v2, v14
	v_mul_u32_u24_e32 v14, 0x437, v13
	v_lshrrev_b32_e32 v27, 18, v14
	v_mul_lo_u16_e32 v14, 0xf3, v27
	v_sub_u16_e32 v13, v13, v14
	v_mad_u64_u32 v[24:25], s[20:21], s16, v13, 0
	v_mul_lo_u32 v36, s18, v17
	v_lshlrev_b64 v[1:2], 4, v[1:2]
	v_mov_b32_e32 v12, s3
	v_add_co_u32_e32 v14, vcc, s1, v1
	v_addc_co_u32_e32 v15, vcc, v12, v2, vcc
	v_mov_b32_e32 v12, v25
	v_lshlrev_b64 v[1:2], 4, v[36:37]
	v_mad_u64_u32 v[25:26], s[20:21], s17, v13, v[12:13]
	v_add_co_u32_e32 v1, vcc, v14, v1
	v_addc_co_u32_e32 v2, vcc, v15, v2, vcc
	global_load_dwordx4 v[12:15], v[20:21], off
	global_load_dwordx4 v[16:19], v[22:23], off
	v_add_u32_e32 v23, 0x510, v0
	v_lshlrev_b64 v[20:21], 4, v[24:25]
	v_mul_u32_u24_e32 v24, 0x437, v23
	v_lshrrev_b32_e32 v32, 18, v24
	v_mul_lo_u16_e32 v24, 0xf3, v32
	v_sub_u16_e32 v23, v23, v24
	v_mad_u64_u32 v[28:29], s[20:21], s16, v23, 0
	v_mul_lo_u32 v36, s18, v27
	v_mov_b32_e32 v22, s3
	v_add_co_u32_e32 v24, vcc, s1, v20
	v_addc_co_u32_e32 v25, vcc, v22, v21, vcc
	v_mov_b32_e32 v22, v29
	v_mad_u64_u32 v[29:30], s[20:21], s17, v23, v[22:23]
	v_lshlrev_b64 v[20:21], 4, v[36:37]
	v_mul_lo_u32 v36, s18, v32
	v_add_co_u32_e32 v30, vcc, v24, v20
	v_addc_co_u32_e32 v31, vcc, v25, v21, vcc
	global_load_dwordx4 v[20:23], v[1:2], off
	global_load_dwordx4 v[24:27], v[30:31], off
	v_lshlrev_b64 v[1:2], 4, v[28:29]
	v_add_u32_e32 v28, 0x5e8, v0
	v_mul_u32_u24_e32 v29, 0x437, v28
	v_lshrrev_b32_e32 v31, 18, v29
	v_mul_lo_u16_e32 v29, 0xf3, v31
	v_sub_u16_e32 v32, v28, v29
	v_mad_u64_u32 v[28:29], s[20:21], s16, v32, 0
	v_mov_b32_e32 v30, s3
	v_add_co_u32_e32 v33, vcc, s1, v1
	v_addc_co_u32_e32 v34, vcc, v30, v2, vcc
	v_lshlrev_b64 v[1:2], 4, v[36:37]
	v_mul_lo_u32 v36, s18, v31
	v_add_u32_e32 v31, 0x6c0, v0
	v_mad_u64_u32 v[29:30], s[20:21], s17, v32, v[29:30]
	v_mul_u32_u24_e32 v32, 0x437, v31
	v_lshrrev_b32_e32 v42, 18, v32
	v_mul_lo_u16_e32 v32, 0xf3, v42
	v_sub_u16_e32 v31, v31, v32
	v_mad_u64_u32 v[38:39], s[20:21], s16, v31, 0
	v_add_co_u32_e32 v1, vcc, v33, v1
	v_lshlrev_b64 v[28:29], 4, v[28:29]
	v_addc_co_u32_e32 v2, vcc, v34, v2, vcc
	v_mov_b32_e32 v30, s3
	v_add_co_u32_e32 v32, vcc, s1, v28
	v_addc_co_u32_e32 v33, vcc, v30, v29, vcc
	v_mov_b32_e32 v30, v39
	v_mad_u64_u32 v[30:31], s[16:17], s17, v31, v[30:31]
	v_lshlrev_b64 v[28:29], 4, v[36:37]
	v_mul_lo_u32 v36, s18, v42
	v_add_co_u32_e32 v40, vcc, v32, v28
	v_addc_co_u32_e32 v41, vcc, v33, v29, vcc
	v_mov_b32_e32 v39, v30
	global_load_dwordx4 v[28:31], v[1:2], off
	global_load_dwordx4 v[32:35], v[40:41], off
	v_lshlrev_b64 v[1:2], 4, v[38:39]
	v_mov_b32_e32 v38, s3
	v_add_co_u32_e32 v39, vcc, s1, v1
	v_addc_co_u32_e32 v38, vcc, v38, v2, vcc
	v_lshlrev_b64 v[1:2], 4, v[36:37]
	v_add_co_u32_e32 v1, vcc, v39, v1
	v_addc_co_u32_e32 v2, vcc, v38, v2, vcc
	global_load_dwordx4 v[36:39], v[1:2], off
	s_waitcnt vmcnt(8)
	ds_write_b128 v3, v[4:7]
	s_waitcnt vmcnt(7)
	ds_write_b128 v3, v[8:11] offset:3456
	s_waitcnt vmcnt(6)
	ds_write_b128 v3, v[12:15] offset:6912
	;; [unrolled: 2-line block ×8, first 2 shown]
.LBB0_6:
	s_mov_b32 s1, 0x2f684bdb
	v_mul_hi_u32 v1, v0, s1
	s_movk_i32 s1, 0x97c
	v_mov_b32_e32 v2, 7
	s_waitcnt lgkmcnt(0)
	v_sub_u32_e32 v3, v0, v1
	v_lshrrev_b32_e32 v3, 1, v3
	v_add_u32_e32 v1, v3, v1
	v_lshrrev_b32_e32 v1, 4, v1
	v_mul_lo_u32 v1, v1, 27
	v_mul_u32_u24_sdwa v3, v0, s1 dst_sel:DWORD dst_unused:UNUSED_PAD src0_sel:WORD_0 src1_sel:DWORD
	v_and_b32_sdwa v2, v3, v2 dst_sel:DWORD dst_unused:UNUSED_PAD src0_sel:WORD_1 src1_sel:DWORD
	v_mul_lo_u16_e32 v2, 0xf3, v2
	v_sub_u32_e32 v8, v0, v1
	v_lshlrev_b32_e32 v7, 4, v2
	v_add_u32_e32 v3, 0, v7
	v_lshlrev_b32_e32 v1, 4, v8
	v_add_u32_e32 v2, v3, v1
	v_add3_u32 v1, 0, v1, v7
	s_barrier
	ds_read_b128 v[9:12], v1 offset:1296
	ds_read_b128 v[13:16], v2
	ds_read_b128 v[17:20], v1 offset:432
	ds_read_b128 v[21:24], v1 offset:864
	;; [unrolled: 1-line block ×6, first 2 shown]
	s_waitcnt lgkmcnt(6)
	v_add_f64 v[4:5], v[13:14], v[9:10]
	v_add_f64 v[43:44], v[15:16], v[11:12]
	s_waitcnt lgkmcnt(3)
	v_add_f64 v[45:46], v[17:18], v[25:26]
	s_waitcnt lgkmcnt(2)
	v_add_f64 v[47:48], v[9:10], v[29:30]
	v_add_f64 v[49:50], v[11:12], -v[31:32]
	v_add_f64 v[51:52], v[11:12], v[31:32]
	v_add_f64 v[53:54], v[9:10], -v[29:30]
	s_waitcnt lgkmcnt(1)
	v_add_f64 v[55:56], v[23:24], v[35:36]
	v_add_f64 v[41:42], v[4:5], v[29:30]
	;; [unrolled: 1-line block ×4, first 2 shown]
	ds_read_b128 v[29:32], v1 offset:3456
	s_waitcnt lgkmcnt(1)
	v_add_f64 v[9:10], v[45:46], v[37:38]
	v_add_f64 v[45:46], v[21:22], v[33:34]
	v_add_f64 v[57:58], v[27:28], -v[39:40]
	s_mov_b32 s16, 0xe8584caa
	s_waitcnt lgkmcnt(0)
	v_add_f64 v[59:60], v[35:36], v[31:32]
	v_add_f64 v[11:12], v[4:5], v[39:40]
	;; [unrolled: 1-line block ×3, first 2 shown]
	v_add_f64 v[37:38], v[25:26], -v[37:38]
	v_add_f64 v[61:62], v[33:34], -v[29:30]
	v_add_f64 v[25:26], v[45:46], v[29:30]
	v_add_f64 v[45:46], v[33:34], v[29:30]
	v_fma_f64 v[29:30], v[47:48], -0.5, v[13:14]
	v_add_f64 v[39:40], v[27:28], v[39:40]
	v_add_f64 v[27:28], v[55:56], v[31:32]
	v_fma_f64 v[4:5], v[4:5], -0.5, v[17:18]
	v_add_f64 v[55:56], v[35:36], -v[31:32]
	v_fma_f64 v[31:32], v[51:52], -0.5, v[15:16]
	s_mov_b32 s17, 0xbfebb67a
	s_mov_b32 s19, 0x3febb67a
	;; [unrolled: 1-line block ×3, first 2 shown]
	v_fma_f64 v[13:14], v[49:50], s[16:17], v[29:30]
	v_fma_f64 v[17:18], v[49:50], s[18:19], v[29:30]
	;; [unrolled: 1-line block ×4, first 2 shown]
	v_fma_f64 v[5:6], v[45:46], -0.5, v[21:22]
	v_fma_f64 v[21:22], v[59:60], -0.5, v[23:24]
	;; [unrolled: 1-line block ×3, first 2 shown]
	v_fma_f64 v[15:16], v[53:54], s[18:19], v[31:32]
	v_lshlrev_b32_e32 v4, 5, v8
	v_fma_f64 v[19:20], v[53:54], s[16:17], v[31:32]
	v_add_u32_e32 v23, v1, v4
	s_barrier
	ds_write_b128 v23, v[41:44]
	ds_write_b128 v23, v[13:16] offset:16
	v_fma_f64 v[13:14], v[55:56], s[16:17], v[5:6]
	v_fma_f64 v[15:16], v[61:62], s[18:19], v[21:22]
	;; [unrolled: 1-line block ×6, first 2 shown]
	ds_write_b128 v23, v[17:20] offset:32
	ds_write_b128 v23, v[9:12] offset:1296
	;; [unrolled: 1-line block ×5, first 2 shown]
	v_add_u32_e32 v9, 0x800, v23
	ds_write2_b64 v9, v[13:14], v[15:16] offset0:70 offset1:71
	ds_write2_b64 v9, v[5:6], v[21:22] offset0:72 offset1:73
	v_mul_lo_u16_e32 v5, 0x56, v8
	v_lshrrev_b16_e32 v58, 8, v5
	v_mul_lo_u16_e32 v5, 3, v58
	v_sub_u16_e32 v59, v8, v5
	v_mov_b32_e32 v9, 5
	v_lshlrev_b32_sdwa v5, v9, v59 dst_sel:DWORD dst_unused:UNUSED_PAD src0_sel:DWORD src1_sel:BYTE_0
	s_waitcnt lgkmcnt(0)
	s_barrier
	global_load_dwordx4 v[10:13], v5, s[8:9]
	global_load_dwordx4 v[14:17], v5, s[8:9] offset:16
	v_add_u32_e32 v5, 27, v8
	v_mul_lo_u16_e32 v6, 0x56, v5
	v_lshrrev_b16_e32 v60, 8, v6
	v_mul_lo_u16_e32 v6, 3, v60
	v_sub_u16_e32 v61, v5, v6
	v_lshlrev_b32_sdwa v6, v9, v61 dst_sel:DWORD dst_unused:UNUSED_PAD src0_sel:DWORD src1_sel:BYTE_0
	global_load_dwordx4 v[18:21], v6, s[8:9]
	global_load_dwordx4 v[22:25], v6, s[8:9] offset:16
	v_add_u32_e32 v6, 54, v8
	v_mul_lo_u16_e32 v26, 0x56, v6
	v_lshrrev_b16_e32 v62, 8, v26
	v_mul_lo_u16_e32 v26, 3, v62
	v_sub_u16_e32 v63, v6, v26
	v_lshlrev_b32_sdwa v34, v9, v63 dst_sel:DWORD dst_unused:UNUSED_PAD src0_sel:DWORD src1_sel:BYTE_0
	global_load_dwordx4 v[26:29], v34, s[8:9]
	global_load_dwordx4 v[30:33], v34, s[8:9] offset:16
	ds_read_b128 v[34:37], v1 offset:1296
	ds_read_b128 v[38:41], v1 offset:864
	;; [unrolled: 1-line block ×4, first 2 shown]
	s_movk_i32 s1, 0x90
	s_waitcnt vmcnt(5) lgkmcnt(3)
	v_mul_f64 v[50:51], v[36:37], v[12:13]
	v_mul_f64 v[12:13], v[34:35], v[12:13]
	v_fma_f64 v[34:35], v[34:35], v[10:11], v[50:51]
	s_waitcnt vmcnt(4) lgkmcnt(1)
	v_mul_f64 v[50:51], v[44:45], v[16:17]
	v_mul_f64 v[16:17], v[42:43], v[16:17]
	v_fma_f64 v[36:37], v[36:37], v[10:11], -v[12:13]
	ds_read_b128 v[10:13], v1 offset:1728
	v_fma_f64 v[42:43], v[42:43], v[14:15], v[50:51]
	v_fma_f64 v[44:45], v[44:45], v[14:15], -v[16:17]
	ds_read_b128 v[14:17], v1 offset:2160
	s_waitcnt vmcnt(3) lgkmcnt(1)
	v_mul_f64 v[50:51], v[12:13], v[20:21]
	v_mul_f64 v[20:21], v[10:11], v[20:21]
	v_fma_f64 v[50:51], v[10:11], v[18:19], v[50:51]
	v_fma_f64 v[52:53], v[12:13], v[18:19], -v[20:21]
	s_waitcnt vmcnt(2)
	v_mul_f64 v[10:11], v[48:49], v[24:25]
	v_mul_f64 v[12:13], v[46:47], v[24:25]
	s_waitcnt vmcnt(1) lgkmcnt(0)
	v_mul_f64 v[18:19], v[16:17], v[28:29]
	v_mul_f64 v[20:21], v[14:15], v[28:29]
	v_add_f64 v[24:25], v[34:35], v[42:43]
	v_add_f64 v[28:29], v[36:37], -v[44:45]
	v_fma_f64 v[46:47], v[46:47], v[22:23], v[10:11]
	v_fma_f64 v[48:49], v[48:49], v[22:23], -v[12:13]
	ds_read_b128 v[10:13], v1 offset:3456
	v_fma_f64 v[54:55], v[14:15], v[26:27], v[18:19]
	s_waitcnt vmcnt(0) lgkmcnt(0)
	v_mul_f64 v[18:19], v[12:13], v[32:33]
	v_mul_f64 v[22:23], v[10:11], v[32:33]
	v_fma_f64 v[32:33], v[16:17], v[26:27], -v[20:21]
	v_add_f64 v[26:27], v[36:37], v[44:45]
	ds_read_b128 v[14:17], v2
	v_fma_f64 v[56:57], v[10:11], v[30:31], v[18:19]
	ds_read_b128 v[18:21], v1 offset:432
	s_waitcnt lgkmcnt(1)
	v_add_f64 v[10:11], v[16:17], v[36:37]
	v_fma_f64 v[30:31], v[12:13], v[30:31], -v[22:23]
	v_fma_f64 v[24:25], v[24:25], -0.5, v[14:15]
	v_add_f64 v[22:23], v[14:15], v[34:35]
	v_fma_f64 v[15:16], v[26:27], -0.5, v[16:17]
	v_add_f64 v[34:35], v[34:35], -v[42:43]
	v_mad_u32_u24 v17, v58, s1, 0
	s_waitcnt lgkmcnt(0)
	v_add_f64 v[13:14], v[10:11], v[44:45]
	v_mov_b32_e32 v10, 4
	v_fma_f64 v[26:27], v[28:29], s[18:19], v[24:25]
	v_add_f64 v[11:12], v[22:23], v[42:43]
	v_fma_f64 v[22:23], v[28:29], s[16:17], v[24:25]
	v_fma_f64 v[24:25], v[34:35], s[18:19], v[15:16]
	v_fma_f64 v[28:29], v[34:35], s[16:17], v[15:16]
	v_lshlrev_b32_sdwa v34, v10, v59 dst_sel:DWORD dst_unused:UNUSED_PAD src0_sel:DWORD src1_sel:BYTE_0
	v_add_f64 v[15:16], v[50:51], v[46:47]
	v_add3_u32 v42, v17, v34, v7
	v_add_f64 v[34:35], v[52:53], v[48:49]
	s_barrier
	ds_write_b128 v42, v[11:14]
	v_add_f64 v[11:12], v[20:21], v[52:53]
	ds_write_b128 v42, v[22:25] offset:48
	v_fma_f64 v[36:37], v[15:16], -0.5, v[18:19]
	v_add_f64 v[15:16], v[18:19], v[50:51]
	v_add_f64 v[17:18], v[52:53], -v[48:49]
	v_fma_f64 v[21:22], v[34:35], -0.5, v[20:21]
	v_add_f64 v[23:24], v[50:51], -v[46:47]
	ds_write_b128 v42, v[26:29] offset:96
	v_add_f64 v[25:26], v[54:55], v[56:57]
	v_add_f64 v[27:28], v[32:33], v[30:31]
	;; [unrolled: 1-line block ×4, first 2 shown]
	v_fma_f64 v[15:16], v[17:18], s[16:17], v[36:37]
	v_fma_f64 v[19:20], v[17:18], s[18:19], v[36:37]
	;; [unrolled: 1-line block ×4, first 2 shown]
	v_add_f64 v[23:24], v[40:41], v[32:33]
	v_add_f64 v[34:35], v[38:39], v[54:55]
	v_fma_f64 v[25:26], v[25:26], -0.5, v[38:39]
	v_add_f64 v[32:33], v[32:33], -v[30:31]
	v_fma_f64 v[36:37], v[27:28], -0.5, v[40:41]
	v_add_f64 v[38:39], v[54:55], -v[56:57]
	v_mad_u32_u24 v29, v60, s1, 0
	v_lshlrev_b32_sdwa v27, v10, v61 dst_sel:DWORD dst_unused:UNUSED_PAD src0_sel:DWORD src1_sel:BYTE_0
	v_add3_u32 v40, v29, v27, v7
	ds_write_b128 v40, v[11:14]
	v_add_f64 v[13:14], v[23:24], v[30:31]
	v_add_f64 v[11:12], v[34:35], v[56:57]
	v_fma_f64 v[23:24], v[32:33], s[16:17], v[25:26]
	v_fma_f64 v[27:28], v[32:33], s[18:19], v[25:26]
	;; [unrolled: 1-line block ×4, first 2 shown]
	ds_write_b128 v40, v[15:18] offset:48
	ds_write_b128 v40, v[19:22] offset:96
	v_mad_u32_u24 v15, v62, s1, 0
	v_lshlrev_b32_sdwa v16, v10, v63 dst_sel:DWORD dst_unused:UNUSED_PAD src0_sel:DWORD src1_sel:BYTE_0
	v_add3_u32 v15, v15, v16, v7
	ds_write_b128 v15, v[11:14]
	ds_write_b128 v15, v[23:26] offset:48
	ds_write_b128 v15, v[27:30] offset:96
	v_mul_lo_u16_e32 v11, 29, v8
	v_lshrrev_b16_e32 v53, 8, v11
	v_mul_lo_u16_e32 v11, 9, v53
	v_sub_u16_e32 v54, v8, v11
	v_lshlrev_b32_sdwa v8, v9, v54 dst_sel:DWORD dst_unused:UNUSED_PAD src0_sel:DWORD src1_sel:BYTE_0
	s_waitcnt lgkmcnt(0)
	s_barrier
	global_load_dwordx4 v[11:14], v8, s[8:9] offset:96
	global_load_dwordx4 v[15:18], v8, s[8:9] offset:112
	v_mul_lo_u16_e32 v8, 57, v5
	v_lshrrev_b16_e32 v55, 9, v8
	v_mul_lo_u16_e32 v8, 9, v55
	v_sub_u16_e32 v56, v5, v8
	v_lshlrev_b32_sdwa v8, v9, v56 dst_sel:DWORD dst_unused:UNUSED_PAD src0_sel:DWORD src1_sel:BYTE_0
	global_load_dwordx4 v[19:22], v8, s[8:9] offset:96
	global_load_dwordx4 v[23:26], v8, s[8:9] offset:112
	v_mul_lo_u16_e32 v8, 57, v6
	v_lshrrev_b16_e32 v57, 9, v8
	v_mul_lo_u16_e32 v8, 9, v57
	v_sub_u16_e32 v58, v6, v8
	v_lshlrev_b32_sdwa v8, v9, v58 dst_sel:DWORD dst_unused:UNUSED_PAD src0_sel:DWORD src1_sel:BYTE_0
	global_load_dwordx4 v[27:30], v8, s[8:9] offset:96
	global_load_dwordx4 v[31:34], v8, s[8:9] offset:112
	ds_read_b128 v[35:38], v1 offset:1296
	ds_read_b128 v[39:42], v1 offset:864
	;; [unrolled: 1-line block ×4, first 2 shown]
	s_movk_i32 s1, 0x1b0
	s_waitcnt vmcnt(5) lgkmcnt(3)
	v_mul_f64 v[8:9], v[37:38], v[13:14]
	v_mul_f64 v[13:14], v[35:36], v[13:14]
	v_fma_f64 v[8:9], v[35:36], v[11:12], v[8:9]
	v_fma_f64 v[35:36], v[37:38], v[11:12], -v[13:14]
	s_waitcnt vmcnt(4) lgkmcnt(1)
	v_mul_f64 v[37:38], v[45:46], v[17:18]
	v_mul_f64 v[17:18], v[43:44], v[17:18]
	ds_read_b128 v[11:14], v1 offset:1728
	v_fma_f64 v[37:38], v[43:44], v[15:16], v[37:38]
	v_fma_f64 v[43:44], v[45:46], v[15:16], -v[17:18]
	ds_read_b128 v[15:18], v1 offset:2160
	s_waitcnt vmcnt(3) lgkmcnt(1)
	v_mul_f64 v[45:46], v[13:14], v[21:22]
	v_mul_f64 v[21:22], v[11:12], v[21:22]
	v_fma_f64 v[45:46], v[11:12], v[19:20], v[45:46]
	v_fma_f64 v[51:52], v[13:14], v[19:20], -v[21:22]
	s_waitcnt vmcnt(2)
	v_mul_f64 v[11:12], v[49:50], v[25:26]
	v_mul_f64 v[13:14], v[47:48], v[25:26]
	s_waitcnt vmcnt(1) lgkmcnt(0)
	v_mul_f64 v[19:20], v[17:18], v[29:30]
	v_mul_f64 v[21:22], v[15:16], v[29:30]
	v_add_f64 v[25:26], v[35:36], v[43:44]
	v_fma_f64 v[47:48], v[47:48], v[23:24], v[11:12]
	v_fma_f64 v[49:50], v[49:50], v[23:24], -v[13:14]
	ds_read_b128 v[11:14], v1 offset:3456
	v_fma_f64 v[29:30], v[15:16], v[27:28], v[19:20]
	v_fma_f64 v[27:28], v[17:18], v[27:28], -v[21:22]
	v_add_f64 v[21:22], v[8:9], v[37:38]
	ds_read_b128 v[15:18], v2
	s_waitcnt vmcnt(0) lgkmcnt(1)
	v_mul_f64 v[19:20], v[13:14], v[33:34]
	v_mul_f64 v[23:24], v[11:12], v[33:34]
	v_fma_f64 v[33:34], v[11:12], v[31:32], v[19:20]
	v_fma_f64 v[31:32], v[13:14], v[31:32], -v[23:24]
	ds_read_b128 v[11:14], v1 offset:432
	s_waitcnt lgkmcnt(1)
	v_fma_f64 v[21:22], v[21:22], -0.5, v[15:16]
	v_add_f64 v[19:20], v[17:18], v[35:36]
	v_add_f64 v[15:16], v[15:16], v[8:9]
	v_add_f64 v[23:24], v[35:36], -v[43:44]
	v_fma_f64 v[25:26], v[25:26], -0.5, v[17:18]
	v_add_f64 v[8:9], v[8:9], -v[37:38]
	v_mad_u32_u24 v35, v53, s1, 0
	v_lshlrev_b32_sdwa v36, v10, v54 dst_sel:DWORD dst_unused:UNUSED_PAD src0_sel:DWORD src1_sel:BYTE_0
	s_waitcnt lgkmcnt(0)
	v_add_f64 v[17:18], v[19:20], v[43:44]
	v_add_f64 v[15:16], v[15:16], v[37:38]
	v_fma_f64 v[19:20], v[23:24], s[16:17], v[21:22]
	v_fma_f64 v[23:24], v[23:24], s[18:19], v[21:22]
	;; [unrolled: 1-line block ×4, first 2 shown]
	v_add_f64 v[8:9], v[45:46], v[47:48]
	v_add3_u32 v37, v35, v36, v7
	v_add_f64 v[35:36], v[51:52], v[49:50]
	s_barrier
	ds_write_b128 v37, v[15:18]
	v_add_f64 v[15:16], v[13:14], v[51:52]
	v_add_f64 v[17:18], v[51:52], -v[49:50]
	v_fma_f64 v[8:9], v[8:9], -0.5, v[11:12]
	v_add_f64 v[11:12], v[11:12], v[45:46]
	ds_write_b128 v37, v[19:22] offset:144
	v_fma_f64 v[21:22], v[35:36], -0.5, v[13:14]
	v_add_f64 v[35:36], v[45:46], -v[47:48]
	ds_write_b128 v37, v[23:26] offset:288
	v_add_f64 v[23:24], v[29:30], v[33:34]
	v_add_f64 v[13:14], v[15:16], v[49:50]
	v_fma_f64 v[15:16], v[17:18], s[16:17], v[8:9]
	v_fma_f64 v[19:20], v[17:18], s[18:19], v[8:9]
	v_add_f64 v[8:9], v[27:28], v[31:32]
	v_add_f64 v[11:12], v[11:12], v[47:48]
	v_fma_f64 v[17:18], v[35:36], s[18:19], v[21:22]
	v_fma_f64 v[21:22], v[35:36], s[16:17], v[21:22]
	v_fma_f64 v[25:26], v[23:24], -0.5, v[39:40]
	v_add_f64 v[23:24], v[41:42], v[27:28]
	v_add_f64 v[35:36], v[39:40], v[29:30]
	v_add_f64 v[27:28], v[27:28], -v[31:32]
	v_fma_f64 v[8:9], v[8:9], -0.5, v[41:42]
	v_add_f64 v[29:30], v[29:30], -v[33:34]
	v_mad_u32_u24 v37, v55, s1, 0
	v_lshlrev_b32_sdwa v38, v10, v56 dst_sel:DWORD dst_unused:UNUSED_PAD src0_sel:DWORD src1_sel:BYTE_0
	v_add3_u32 v37, v37, v38, v7
	ds_write_b128 v37, v[11:14]
	v_add_f64 v[13:14], v[23:24], v[31:32]
	v_add_f64 v[11:12], v[35:36], v[33:34]
	v_fma_f64 v[23:24], v[27:28], s[16:17], v[25:26]
	v_fma_f64 v[27:28], v[27:28], s[18:19], v[25:26]
	;; [unrolled: 1-line block ×4, first 2 shown]
	v_lshlrev_b32_sdwa v8, v10, v58 dst_sel:DWORD dst_unused:UNUSED_PAD src0_sel:DWORD src1_sel:BYTE_0
	v_mad_u32_u24 v9, v57, s1, 0
	v_add3_u32 v7, v9, v8, v7
	ds_write_b128 v37, v[15:18] offset:144
	ds_write_b128 v37, v[19:22] offset:288
	ds_write_b128 v7, v[11:14]
	ds_write_b128 v7, v[23:26] offset:144
	ds_write_b128 v7, v[27:30] offset:288
	s_waitcnt lgkmcnt(0)
	s_barrier
	global_load_dwordx4 v[7:10], v4, s[8:9] offset:384
	global_load_dwordx4 v[11:14], v4, s[8:9] offset:400
	v_mul_lo_u16_e32 v15, 19, v6
	v_lshrrev_b16_e32 v15, 9, v15
	v_mul_lo_u16_e32 v15, 27, v15
	v_sub_u16_e32 v15, v6, v15
	v_and_b32_e32 v61, 0xff, v15
	v_lshlrev_b32_e32 v23, 5, v61
	global_load_dwordx4 v[15:18], v23, s[8:9] offset:384
	global_load_dwordx4 v[19:22], v23, s[8:9] offset:400
	ds_read_b128 v[23:26], v1 offset:1296
	ds_read_b128 v[27:30], v1 offset:1728
	;; [unrolled: 1-line block ×7, first 2 shown]
	v_lshl_add_u32 v3, v61, 4, v3
	s_mov_b32 s1, 0
	s_waitcnt vmcnt(3) lgkmcnt(6)
	v_mul_f64 v[51:52], v[25:26], v[9:10]
	v_mul_f64 v[53:54], v[23:24], v[9:10]
	s_waitcnt lgkmcnt(5)
	v_mul_f64 v[55:56], v[29:30], v[9:10]
	v_mul_f64 v[9:10], v[27:28], v[9:10]
	v_fma_f64 v[23:24], v[23:24], v[7:8], v[51:52]
	s_waitcnt vmcnt(2) lgkmcnt(2)
	v_mul_f64 v[51:52], v[41:42], v[13:14]
	v_fma_f64 v[25:26], v[25:26], v[7:8], -v[53:54]
	v_mul_f64 v[53:54], v[39:40], v[13:14]
	v_fma_f64 v[27:28], v[27:28], v[7:8], v[55:56]
	v_fma_f64 v[29:30], v[29:30], v[7:8], -v[9:10]
	s_waitcnt lgkmcnt(1)
	v_mul_f64 v[7:8], v[45:46], v[13:14]
	v_mul_f64 v[9:10], v[43:44], v[13:14]
	s_waitcnt vmcnt(1)
	v_mul_f64 v[13:14], v[37:38], v[17:18]
	v_mul_f64 v[17:18], v[35:36], v[17:18]
	v_fma_f64 v[39:40], v[39:40], v[11:12], v[51:52]
	v_fma_f64 v[41:42], v[41:42], v[11:12], -v[53:54]
	s_waitcnt vmcnt(0) lgkmcnt(0)
	v_mul_f64 v[51:52], v[49:50], v[21:22]
	v_mul_f64 v[21:22], v[47:48], v[21:22]
	v_fma_f64 v[43:44], v[43:44], v[11:12], v[7:8]
	v_fma_f64 v[45:46], v[45:46], v[11:12], -v[9:10]
	v_fma_f64 v[35:36], v[35:36], v[15:16], v[13:14]
	v_fma_f64 v[37:38], v[37:38], v[15:16], -v[17:18]
	v_add_f64 v[15:16], v[23:24], v[39:40]
	ds_read_b128 v[7:10], v2
	ds_read_b128 v[11:14], v1 offset:432
	v_add_f64 v[17:18], v[25:26], v[41:42]
	v_fma_f64 v[47:48], v[47:48], v[19:20], v[51:52]
	v_fma_f64 v[49:50], v[49:50], v[19:20], -v[21:22]
	s_waitcnt lgkmcnt(1)
	v_add_f64 v[19:20], v[9:10], v[25:26]
	v_add_f64 v[25:26], v[25:26], -v[41:42]
	v_add_f64 v[57:58], v[29:30], v[45:46]
	v_fma_f64 v[51:52], v[15:16], -0.5, v[7:8]
	s_waitcnt lgkmcnt(0)
	v_add_f64 v[59:60], v[13:14], v[29:30]
	v_add_f64 v[21:22], v[7:8], v[23:24]
	v_add_f64 v[23:24], v[23:24], -v[39:40]
	v_fma_f64 v[53:54], v[17:18], -0.5, v[9:10]
	v_add_f64 v[9:10], v[19:20], v[41:42]
	v_add_f64 v[41:42], v[35:36], v[47:48]
	;; [unrolled: 1-line block ×3, first 2 shown]
	v_fma_f64 v[15:16], v[25:26], s[16:17], v[51:52]
	v_fma_f64 v[19:20], v[25:26], s[18:19], v[51:52]
	v_add_f64 v[29:30], v[29:30], -v[45:46]
	v_fma_f64 v[51:52], v[57:58], -0.5, v[13:14]
	v_add_f64 v[13:14], v[59:60], v[45:46]
	v_add_f64 v[45:46], v[37:38], v[49:50]
	;; [unrolled: 1-line block ×4, first 2 shown]
	v_fma_f64 v[17:18], v[23:24], s[18:19], v[53:54]
	v_fma_f64 v[21:22], v[23:24], s[16:17], v[53:54]
	v_fma_f64 v[41:42], v[41:42], -0.5, v[31:32]
	v_add_f64 v[53:54], v[33:34], v[37:38]
	v_add_f64 v[31:32], v[31:32], v[35:36]
	v_fma_f64 v[39:40], v[55:56], -0.5, v[11:12]
	v_add_f64 v[37:38], v[37:38], -v[49:50]
	v_fma_f64 v[45:46], v[45:46], -0.5, v[33:34]
	v_add_f64 v[55:56], v[35:36], -v[47:48]
	v_add_f64 v[11:12], v[25:26], v[43:44]
	v_add_f64 v[43:44], v[27:28], -v[43:44]
	v_add_f64 v[33:34], v[53:54], v[49:50]
	v_add_f64 v[31:32], v[31:32], v[47:48]
	v_fma_f64 v[23:24], v[29:30], s[16:17], v[39:40]
	v_fma_f64 v[27:28], v[29:30], s[18:19], v[39:40]
	;; [unrolled: 1-line block ×8, first 2 shown]
	s_barrier
	ds_write_b128 v1, v[7:10]
	ds_write_b128 v1, v[15:18] offset:432
	ds_write_b128 v1, v[19:22] offset:864
	;; [unrolled: 1-line block ×8, first 2 shown]
	s_waitcnt lgkmcnt(0)
	s_barrier
	global_load_dwordx4 v[7:10], v4, s[8:9] offset:1248
	global_load_dwordx4 v[11:14], v4, s[8:9] offset:1264
	v_lshlrev_b32_e32 v3, 5, v5
	global_load_dwordx4 v[15:18], v3, s[8:9] offset:1248
	global_load_dwordx4 v[19:22], v3, s[8:9] offset:1264
	v_lshlrev_b32_e32 v27, 5, v6
	global_load_dwordx4 v[3:6], v27, s[8:9] offset:1248
	global_load_dwordx4 v[23:26], v27, s[8:9] offset:1264
	ds_read_b128 v[27:30], v1 offset:1296
	ds_read_b128 v[31:34], v1 offset:864
	;; [unrolled: 1-line block ×6, first 2 shown]
	s_waitcnt vmcnt(5) lgkmcnt(5)
	v_mul_f64 v[51:52], v[29:30], v[9:10]
	v_mul_f64 v[9:10], v[27:28], v[9:10]
	s_waitcnt vmcnt(4) lgkmcnt(3)
	v_mul_f64 v[53:54], v[37:38], v[13:14]
	v_mul_f64 v[13:14], v[35:36], v[13:14]
	v_fma_f64 v[27:28], v[27:28], v[7:8], v[51:52]
	s_waitcnt vmcnt(3) lgkmcnt(1)
	v_mul_f64 v[51:52], v[45:46], v[17:18]
	v_fma_f64 v[29:30], v[29:30], v[7:8], -v[9:10]
	ds_read_b128 v[7:10], v1 offset:3456
	v_mul_f64 v[17:18], v[43:44], v[17:18]
	v_fma_f64 v[35:36], v[35:36], v[11:12], v[53:54]
	v_fma_f64 v[37:38], v[37:38], v[11:12], -v[13:14]
	s_waitcnt vmcnt(2)
	v_mul_f64 v[11:12], v[41:42], v[21:22]
	v_mul_f64 v[13:14], v[39:40], v[21:22]
	s_waitcnt vmcnt(1) lgkmcnt(1)
	v_mul_f64 v[21:22], v[49:50], v[5:6]
	v_mul_f64 v[5:6], v[47:48], v[5:6]
	v_fma_f64 v[43:44], v[43:44], v[15:16], v[51:52]
	s_waitcnt vmcnt(0) lgkmcnt(0)
	v_mul_f64 v[51:52], v[9:10], v[25:26]
	v_mul_f64 v[25:26], v[7:8], v[25:26]
	v_fma_f64 v[45:46], v[45:46], v[15:16], -v[17:18]
	v_fma_f64 v[39:40], v[39:40], v[19:20], v[11:12]
	v_fma_f64 v[19:20], v[41:42], v[19:20], -v[13:14]
	ds_read_b128 v[11:14], v2
	ds_read_b128 v[15:18], v1 offset:432
	v_fma_f64 v[21:22], v[47:48], v[3:4], v[21:22]
	v_fma_f64 v[2:3], v[49:50], v[3:4], -v[5:6]
	v_fma_f64 v[41:42], v[7:8], v[23:24], v[51:52]
	v_fma_f64 v[23:24], v[9:10], v[23:24], -v[25:26]
	v_add_f64 v[4:5], v[27:28], v[35:36]
	v_add_f64 v[6:7], v[29:30], v[37:38]
	s_waitcnt lgkmcnt(1)
	v_add_f64 v[8:9], v[13:14], v[29:30]
	v_add_f64 v[25:26], v[11:12], v[27:28]
	;; [unrolled: 1-line block ×4, first 2 shown]
	s_waitcnt lgkmcnt(0)
	v_add_f64 v[51:52], v[15:16], v[43:44]
	v_add_f64 v[53:54], v[17:18], v[45:46]
	v_add_f64 v[29:30], v[29:30], -v[37:38]
	v_add_f64 v[27:28], v[27:28], -v[35:36]
	v_add_f64 v[55:56], v[21:22], v[41:42]
	v_add_f64 v[57:58], v[2:3], v[23:24]
	v_fma_f64 v[61:62], v[4:5], -0.5, v[11:12]
	v_fma_f64 v[63:64], v[6:7], -0.5, v[13:14]
	v_add_f64 v[59:60], v[33:34], v[2:3]
	v_add_f64 v[45:46], v[45:46], -v[19:20]
	v_add_f64 v[43:44], v[43:44], -v[39:40]
	;; [unrolled: 1-line block ×3, first 2 shown]
	v_add_f64 v[4:5], v[8:9], v[37:38]
	v_add_f64 v[2:3], v[25:26], v[35:36]
	v_fma_f64 v[25:26], v[47:48], -0.5, v[15:16]
	v_fma_f64 v[35:36], v[49:50], -0.5, v[17:18]
	v_add_f64 v[10:11], v[31:32], v[21:22]
	v_add_f64 v[6:7], v[51:52], v[39:40]
	;; [unrolled: 1-line block ×3, first 2 shown]
	v_add_f64 v[67:68], v[21:22], -v[41:42]
	v_fma_f64 v[31:32], v[55:56], -0.5, v[31:32]
	v_fma_f64 v[33:34], v[57:58], -0.5, v[33:34]
	v_fma_f64 v[14:15], v[29:30], s[16:17], v[61:62]
	v_fma_f64 v[16:17], v[27:28], s[18:19], v[63:64]
	;; [unrolled: 1-line block ×4, first 2 shown]
	s_barrier
	ds_write_b128 v1, v[2:5]
	ds_write_b128 v1, v[6:9] offset:432
	v_fma_f64 v[2:3], v[45:46], s[16:17], v[25:26]
	v_fma_f64 v[4:5], v[43:44], s[18:19], v[35:36]
	;; [unrolled: 1-line block ×4, first 2 shown]
	v_add_f64 v[12:13], v[59:60], v[23:24]
	v_add_f64 v[10:11], v[10:11], v[41:42]
	ds_write_b128 v1, v[14:17] offset:1296
	v_fma_f64 v[14:15], v[65:66], s[16:17], v[31:32]
	v_fma_f64 v[22:23], v[67:68], s[18:19], v[33:34]
	;; [unrolled: 1-line block ×4, first 2 shown]
	ds_write_b128 v1, v[18:21] offset:2592
	ds_write2_b64 v1, v[2:3], v[4:5] offset0:216 offset1:217
	v_add_u32_e32 v2, 0x800, v1
	ds_write2_b64 v2, v[6:7], v[8:9] offset0:122 offset1:123
	ds_write_b128 v1, v[10:13] offset:864
	ds_write2_b64 v2, v[14:15], v[22:23] offset0:14 offset1:15
	ds_write2_b64 v2, v[16:17], v[24:25] offset0:176 offset1:177
	v_and_b32_e32 v1, 7, v0
	v_or_b32_e32 v2, s27, v1
	v_cmp_gt_u32_e32 vcc, s0, v2
	s_or_b64 s[8:9], s[10:11], vcc
	s_waitcnt lgkmcnt(0)
	s_barrier
	s_and_saveexec_b64 s[10:11], s[8:9]
	s_cbranch_execz .LBB0_8
; %bb.7:
	v_mad_u64_u32 v[4:5], s[10:11], s12, v1, 0
	s_load_dwordx2 s[4:5], s[4:5], 0x60
	s_mul_i32 s3, s13, s27
	s_mul_hi_u32 s8, s12, s27
	s_add_i32 s9, s8, s3
	s_mul_i32 s8, s12, s27
	s_mul_i32 s3, s7, s26
	s_mul_hi_u32 s7, s6, s26
	v_mov_b32_e32 v2, v5
	v_mad_u64_u32 v[2:3], s[10:11], s13, v1, v[2:3]
	s_add_i32 s7, s7, s3
	s_lshl_b64 s[8:9], s[8:9], 4
	s_mul_i32 s0, s28, s14
	s_waitcnt lgkmcnt(0)
	s_add_u32 s3, s4, s8
	s_addc_u32 s4, s5, s9
	s_lshl_b64 s[0:1], s[0:1], 4
	s_mul_i32 s6, s6, s26
	v_lshrrev_b32_e32 v0, 3, v0
	s_add_u32 s3, s3, s0
	v_mov_b32_e32 v5, v2
	v_mul_lo_u32 v8, v0, s2
	s_addc_u32 s4, s4, s1
	s_lshl_b64 s[0:1], s[6:7], 4
	v_mul_u32_u24_e32 v1, 0xf30, v1
	v_lshlrev_b32_e32 v0, 4, v0
	s_add_u32 s0, s3, s0
	v_lshlrev_b64 v[4:5], 4, v[4:5]
	v_add3_u32 v12, 0, v1, v0
	s_addc_u32 s1, s4, s1
	v_mov_b32_e32 v9, 0
	ds_read_b128 v[0:3], v12
	v_mov_b32_e32 v6, s1
	v_add_co_u32_e32 v13, vcc, s0, v4
	v_addc_co_u32_e32 v14, vcc, v6, v5, vcc
	v_lshlrev_b64 v[4:5], 4, v[8:9]
	s_mul_i32 s0, s2, 27
	v_add_co_u32_e32 v10, vcc, v13, v4
	v_addc_co_u32_e32 v11, vcc, v14, v5, vcc
	ds_read_b128 v[4:7], v12 offset:432
	v_add_u32_e32 v8, s0, v8
	s_waitcnt lgkmcnt(1)
	global_store_dwordx4 v[10:11], v[0:3], off
	s_nop 0
	v_lshlrev_b64 v[0:1], 4, v[8:9]
	v_add_u32_e32 v8, s0, v8
	v_add_co_u32_e32 v0, vcc, v13, v0
	v_addc_co_u32_e32 v1, vcc, v14, v1, vcc
	s_waitcnt lgkmcnt(0)
	global_store_dwordx4 v[0:1], v[4:7], off
	ds_read_b128 v[0:3], v12 offset:864
	v_lshlrev_b64 v[4:5], 4, v[8:9]
	v_add_u32_e32 v8, s0, v8
	v_add_co_u32_e32 v10, vcc, v13, v4
	v_addc_co_u32_e32 v11, vcc, v14, v5, vcc
	ds_read_b128 v[4:7], v12 offset:1296
	s_waitcnt lgkmcnt(1)
	global_store_dwordx4 v[10:11], v[0:3], off
	s_nop 0
	v_lshlrev_b64 v[0:1], 4, v[8:9]
	v_add_u32_e32 v8, s0, v8
	v_add_co_u32_e32 v0, vcc, v13, v0
	v_addc_co_u32_e32 v1, vcc, v14, v1, vcc
	s_waitcnt lgkmcnt(0)
	global_store_dwordx4 v[0:1], v[4:7], off
	ds_read_b128 v[0:3], v12 offset:1728
	v_lshlrev_b64 v[4:5], 4, v[8:9]
	v_add_u32_e32 v8, s0, v8
	v_add_co_u32_e32 v10, vcc, v13, v4
	v_addc_co_u32_e32 v11, vcc, v14, v5, vcc
	ds_read_b128 v[4:7], v12 offset:2160
	s_waitcnt lgkmcnt(1)
	global_store_dwordx4 v[10:11], v[0:3], off
	s_nop 0
	v_lshlrev_b64 v[0:1], 4, v[8:9]
	v_add_u32_e32 v8, s0, v8
	v_add_co_u32_e32 v0, vcc, v13, v0
	v_addc_co_u32_e32 v1, vcc, v14, v1, vcc
	s_waitcnt lgkmcnt(0)
	global_store_dwordx4 v[0:1], v[4:7], off
	ds_read_b128 v[0:3], v12 offset:2592
	v_lshlrev_b64 v[4:5], 4, v[8:9]
	v_add_u32_e32 v8, s0, v8
	v_add_co_u32_e32 v10, vcc, v13, v4
	v_addc_co_u32_e32 v11, vcc, v14, v5, vcc
	ds_read_b128 v[4:7], v12 offset:3024
	s_waitcnt lgkmcnt(1)
	global_store_dwordx4 v[10:11], v[0:3], off
	s_nop 0
	v_lshlrev_b64 v[0:1], 4, v[8:9]
	v_add_u32_e32 v8, s0, v8
	v_add_co_u32_e32 v0, vcc, v13, v0
	v_addc_co_u32_e32 v1, vcc, v14, v1, vcc
	s_waitcnt lgkmcnt(0)
	global_store_dwordx4 v[0:1], v[4:7], off
	ds_read_b128 v[0:3], v12 offset:3456
	v_lshlrev_b64 v[4:5], 4, v[8:9]
	v_add_co_u32_e32 v4, vcc, v13, v4
	v_addc_co_u32_e32 v5, vcc, v14, v5, vcc
	s_waitcnt lgkmcnt(0)
	global_store_dwordx4 v[4:5], v[0:3], off
.LBB0_8:
	s_endpgm
	.section	.rodata,"a",@progbits
	.p2align	6, 0x0
	.amdhsa_kernel fft_rtc_back_len243_factors_3_3_3_3_3_wgs_216_tpt_27_dp_op_CI_CI_sbrc_z_xy_unaligned
		.amdhsa_group_segment_fixed_size 0
		.amdhsa_private_segment_fixed_size 0
		.amdhsa_kernarg_size 104
		.amdhsa_user_sgpr_count 6
		.amdhsa_user_sgpr_private_segment_buffer 1
		.amdhsa_user_sgpr_dispatch_ptr 0
		.amdhsa_user_sgpr_queue_ptr 0
		.amdhsa_user_sgpr_kernarg_segment_ptr 1
		.amdhsa_user_sgpr_dispatch_id 0
		.amdhsa_user_sgpr_flat_scratch_init 0
		.amdhsa_user_sgpr_private_segment_size 0
		.amdhsa_uses_dynamic_stack 0
		.amdhsa_system_sgpr_private_segment_wavefront_offset 0
		.amdhsa_system_sgpr_workgroup_id_x 1
		.amdhsa_system_sgpr_workgroup_id_y 0
		.amdhsa_system_sgpr_workgroup_id_z 0
		.amdhsa_system_sgpr_workgroup_info 0
		.amdhsa_system_vgpr_workitem_id 0
		.amdhsa_next_free_vgpr 69
		.amdhsa_next_free_sgpr 32
		.amdhsa_reserve_vcc 1
		.amdhsa_reserve_flat_scratch 0
		.amdhsa_float_round_mode_32 0
		.amdhsa_float_round_mode_16_64 0
		.amdhsa_float_denorm_mode_32 3
		.amdhsa_float_denorm_mode_16_64 3
		.amdhsa_dx10_clamp 1
		.amdhsa_ieee_mode 1
		.amdhsa_fp16_overflow 0
		.amdhsa_exception_fp_ieee_invalid_op 0
		.amdhsa_exception_fp_denorm_src 0
		.amdhsa_exception_fp_ieee_div_zero 0
		.amdhsa_exception_fp_ieee_overflow 0
		.amdhsa_exception_fp_ieee_underflow 0
		.amdhsa_exception_fp_ieee_inexact 0
		.amdhsa_exception_int_div_zero 0
	.end_amdhsa_kernel
	.text
.Lfunc_end0:
	.size	fft_rtc_back_len243_factors_3_3_3_3_3_wgs_216_tpt_27_dp_op_CI_CI_sbrc_z_xy_unaligned, .Lfunc_end0-fft_rtc_back_len243_factors_3_3_3_3_3_wgs_216_tpt_27_dp_op_CI_CI_sbrc_z_xy_unaligned
                                        ; -- End function
	.section	.AMDGPU.csdata,"",@progbits
; Kernel info:
; codeLenInByte = 6344
; NumSgprs: 36
; NumVgprs: 69
; ScratchSize: 0
; MemoryBound: 0
; FloatMode: 240
; IeeeMode: 1
; LDSByteSize: 0 bytes/workgroup (compile time only)
; SGPRBlocks: 4
; VGPRBlocks: 17
; NumSGPRsForWavesPerEU: 36
; NumVGPRsForWavesPerEU: 69
; Occupancy: 3
; WaveLimiterHint : 1
; COMPUTE_PGM_RSRC2:SCRATCH_EN: 0
; COMPUTE_PGM_RSRC2:USER_SGPR: 6
; COMPUTE_PGM_RSRC2:TRAP_HANDLER: 0
; COMPUTE_PGM_RSRC2:TGID_X_EN: 1
; COMPUTE_PGM_RSRC2:TGID_Y_EN: 0
; COMPUTE_PGM_RSRC2:TGID_Z_EN: 0
; COMPUTE_PGM_RSRC2:TIDIG_COMP_CNT: 0
	.type	__hip_cuid_a38c755f641a2f75,@object ; @__hip_cuid_a38c755f641a2f75
	.section	.bss,"aw",@nobits
	.globl	__hip_cuid_a38c755f641a2f75
__hip_cuid_a38c755f641a2f75:
	.byte	0                               ; 0x0
	.size	__hip_cuid_a38c755f641a2f75, 1

	.ident	"AMD clang version 19.0.0git (https://github.com/RadeonOpenCompute/llvm-project roc-6.4.0 25133 c7fe45cf4b819c5991fe208aaa96edf142730f1d)"
	.section	".note.GNU-stack","",@progbits
	.addrsig
	.addrsig_sym __hip_cuid_a38c755f641a2f75
	.amdgpu_metadata
---
amdhsa.kernels:
  - .args:
      - .actual_access:  read_only
        .address_space:  global
        .offset:         0
        .size:           8
        .value_kind:     global_buffer
      - .offset:         8
        .size:           8
        .value_kind:     by_value
      - .actual_access:  read_only
        .address_space:  global
        .offset:         16
        .size:           8
        .value_kind:     global_buffer
      - .actual_access:  read_only
        .address_space:  global
        .offset:         24
        .size:           8
        .value_kind:     global_buffer
      - .actual_access:  read_only
        .address_space:  global
        .offset:         32
        .size:           8
        .value_kind:     global_buffer
      - .offset:         40
        .size:           8
        .value_kind:     by_value
      - .actual_access:  read_only
        .address_space:  global
        .offset:         48
        .size:           8
        .value_kind:     global_buffer
      - .actual_access:  read_only
        .address_space:  global
        .offset:         56
        .size:           8
        .value_kind:     global_buffer
      - .offset:         64
        .size:           4
        .value_kind:     by_value
      - .actual_access:  read_only
        .address_space:  global
        .offset:         72
        .size:           8
        .value_kind:     global_buffer
      - .actual_access:  read_only
        .address_space:  global
        .offset:         80
        .size:           8
        .value_kind:     global_buffer
      - .actual_access:  read_only
        .address_space:  global
        .offset:         88
        .size:           8
        .value_kind:     global_buffer
      - .actual_access:  write_only
        .address_space:  global
        .offset:         96
        .size:           8
        .value_kind:     global_buffer
    .group_segment_fixed_size: 0
    .kernarg_segment_align: 8
    .kernarg_segment_size: 104
    .language:       OpenCL C
    .language_version:
      - 2
      - 0
    .max_flat_workgroup_size: 216
    .name:           fft_rtc_back_len243_factors_3_3_3_3_3_wgs_216_tpt_27_dp_op_CI_CI_sbrc_z_xy_unaligned
    .private_segment_fixed_size: 0
    .sgpr_count:     36
    .sgpr_spill_count: 0
    .symbol:         fft_rtc_back_len243_factors_3_3_3_3_3_wgs_216_tpt_27_dp_op_CI_CI_sbrc_z_xy_unaligned.kd
    .uniform_work_group_size: 1
    .uses_dynamic_stack: false
    .vgpr_count:     69
    .vgpr_spill_count: 0
    .wavefront_size: 64
amdhsa.target:   amdgcn-amd-amdhsa--gfx906
amdhsa.version:
  - 1
  - 2
...

	.end_amdgpu_metadata
